;; amdgpu-corpus repo=ROCm/rocFFT kind=compiled arch=gfx1201 opt=O3
	.text
	.amdgcn_target "amdgcn-amd-amdhsa--gfx1201"
	.amdhsa_code_object_version 6
	.protected	fft_rtc_fwd_len200_factors_2_4_5_5_wgs_320_tpt_20_dim3_sp_ip_CI_sbcc_twdbase8_3step_dirReg_intrinsicReadWrite ; -- Begin function fft_rtc_fwd_len200_factors_2_4_5_5_wgs_320_tpt_20_dim3_sp_ip_CI_sbcc_twdbase8_3step_dirReg_intrinsicReadWrite
	.globl	fft_rtc_fwd_len200_factors_2_4_5_5_wgs_320_tpt_20_dim3_sp_ip_CI_sbcc_twdbase8_3step_dirReg_intrinsicReadWrite
	.p2align	8
	.type	fft_rtc_fwd_len200_factors_2_4_5_5_wgs_320_tpt_20_dim3_sp_ip_CI_sbcc_twdbase8_3step_dirReg_intrinsicReadWrite,@function
fft_rtc_fwd_len200_factors_2_4_5_5_wgs_320_tpt_20_dim3_sp_ip_CI_sbcc_twdbase8_3step_dirReg_intrinsicReadWrite: ; @fft_rtc_fwd_len200_factors_2_4_5_5_wgs_320_tpt_20_dim3_sp_ip_CI_sbcc_twdbase8_3step_dirReg_intrinsicReadWrite
; %bb.0:
	s_load_b128 s[4:7], s[0:1], 0x10
	s_mov_b32 s10, ttmp9
	s_mov_b32 s11, 0
	s_mov_b64 s[16:17], 0
	s_wait_kmcnt 0x0
	s_load_b64 s[8:9], s[4:5], 0x8
	s_wait_kmcnt 0x0
	s_add_nc_u64 s[2:3], s[8:9], -1
	s_delay_alu instid0(SALU_CYCLE_1) | instskip(NEXT) | instid1(SALU_CYCLE_1)
	s_lshr_b64 s[2:3], s[2:3], 4
	s_add_nc_u64 s[12:13], s[2:3], 1
	s_delay_alu instid0(SALU_CYCLE_1) | instskip(NEXT) | instid1(VALU_DEP_1)
	v_cmp_lt_u64_e64 s2, s[10:11], s[12:13]
	s_and_b32 vcc_lo, exec_lo, s2
	s_cbranch_vccnz .LBB0_2
; %bb.1:
	v_cvt_f32_u32_e32 v1, s12
	s_sub_co_i32 s3, 0, s12
	s_mov_b32 s17, s11
	s_delay_alu instid0(VALU_DEP_1) | instskip(NEXT) | instid1(TRANS32_DEP_1)
	v_rcp_iflag_f32_e32 v1, v1
	v_mul_f32_e32 v1, 0x4f7ffffe, v1
	s_delay_alu instid0(VALU_DEP_1) | instskip(NEXT) | instid1(VALU_DEP_1)
	v_cvt_u32_f32_e32 v1, v1
	v_readfirstlane_b32 s2, v1
	s_delay_alu instid0(VALU_DEP_1) | instskip(NEXT) | instid1(SALU_CYCLE_1)
	s_mul_i32 s3, s3, s2
	s_mul_hi_u32 s3, s2, s3
	s_delay_alu instid0(SALU_CYCLE_1) | instskip(NEXT) | instid1(SALU_CYCLE_1)
	s_add_co_i32 s2, s2, s3
	s_mul_hi_u32 s2, s10, s2
	s_delay_alu instid0(SALU_CYCLE_1) | instskip(SKIP_2) | instid1(SALU_CYCLE_1)
	s_mul_i32 s3, s2, s12
	s_add_co_i32 s14, s2, 1
	s_sub_co_i32 s3, s10, s3
	s_sub_co_i32 s15, s3, s12
	s_cmp_ge_u32 s3, s12
	s_cselect_b32 s2, s14, s2
	s_cselect_b32 s3, s15, s3
	s_add_co_i32 s14, s2, 1
	s_cmp_ge_u32 s3, s12
	s_cselect_b32 s16, s14, s2
.LBB0_2:
	s_load_b64 s[22:23], s[4:5], 0x10
	s_load_b64 s[14:15], s[6:7], 0x8
	s_mov_b64 s[18:19], s[16:17]
	s_wait_kmcnt 0x0
	v_cmp_lt_u64_e64 s2, s[16:17], s[22:23]
	s_delay_alu instid0(VALU_DEP_1)
	s_and_b32 vcc_lo, exec_lo, s2
	s_cbranch_vccnz .LBB0_4
; %bb.3:
	v_cvt_f32_u32_e32 v1, s22
	s_sub_co_i32 s3, 0, s22
	s_mov_b32 s19, 0
	s_delay_alu instid0(VALU_DEP_1) | instskip(NEXT) | instid1(TRANS32_DEP_1)
	v_rcp_iflag_f32_e32 v1, v1
	v_mul_f32_e32 v1, 0x4f7ffffe, v1
	s_delay_alu instid0(VALU_DEP_1) | instskip(NEXT) | instid1(VALU_DEP_1)
	v_cvt_u32_f32_e32 v1, v1
	v_readfirstlane_b32 s2, v1
	s_delay_alu instid0(VALU_DEP_1) | instskip(NEXT) | instid1(SALU_CYCLE_1)
	s_mul_i32 s3, s3, s2
	s_mul_hi_u32 s3, s2, s3
	s_delay_alu instid0(SALU_CYCLE_1) | instskip(NEXT) | instid1(SALU_CYCLE_1)
	s_add_co_i32 s2, s2, s3
	s_mul_hi_u32 s2, s16, s2
	s_delay_alu instid0(SALU_CYCLE_1) | instskip(NEXT) | instid1(SALU_CYCLE_1)
	s_mul_i32 s2, s2, s22
	s_sub_co_i32 s2, s16, s2
	s_delay_alu instid0(SALU_CYCLE_1) | instskip(SKIP_2) | instid1(SALU_CYCLE_1)
	s_sub_co_i32 s3, s2, s22
	s_cmp_ge_u32 s2, s22
	s_cselect_b32 s2, s3, s2
	s_sub_co_i32 s3, s2, s22
	s_cmp_ge_u32 s2, s22
	s_cselect_b32 s18, s3, s2
.LBB0_4:
	s_load_b64 s[2:3], s[0:1], 0x50
	s_clause 0x1
	s_load_b64 s[4:5], s[6:7], 0x0
	s_load_b64 s[20:21], s[6:7], 0x10
	s_mul_u64 s[24:25], s[22:23], s[12:13]
	s_mov_b64 s[22:23], 0
	s_wait_kmcnt 0x0
	v_cmp_lt_u64_e64 s5, s[10:11], s[24:25]
	s_delay_alu instid0(VALU_DEP_1)
	s_and_b32 vcc_lo, exec_lo, s5
	s_cbranch_vccnz .LBB0_6
; %bb.5:
	v_cvt_f32_u32_e32 v1, s24
	s_sub_co_i32 s22, 0, s24
	s_delay_alu instid0(VALU_DEP_1) | instskip(NEXT) | instid1(TRANS32_DEP_1)
	v_rcp_iflag_f32_e32 v1, v1
	v_mul_f32_e32 v1, 0x4f7ffffe, v1
	s_delay_alu instid0(VALU_DEP_1) | instskip(NEXT) | instid1(VALU_DEP_1)
	v_cvt_u32_f32_e32 v1, v1
	v_readfirstlane_b32 s5, v1
	s_wait_alu 0xfffe
	s_delay_alu instid0(VALU_DEP_1) | instskip(SKIP_4) | instid1(SALU_CYCLE_1)
	s_mul_i32 s22, s22, s5
	s_wait_alu 0xfffe
	s_mul_hi_u32 s22, s5, s22
	s_wait_alu 0xfffe
	s_add_co_i32 s5, s5, s22
	s_mul_hi_u32 s5, s10, s5
	s_delay_alu instid0(SALU_CYCLE_1)
	s_mul_i32 s22, s5, s24
	s_add_co_i32 s23, s5, 1
	s_wait_alu 0xfffe
	s_sub_co_i32 s22, s10, s22
	s_wait_alu 0xfffe
	s_sub_co_i32 s25, s22, s24
	s_cmp_ge_u32 s22, s24
	s_cselect_b32 s5, s23, s5
	s_wait_alu 0xfffe
	s_cselect_b32 s22, s25, s22
	s_add_co_i32 s25, s5, 1
	s_wait_alu 0xfffe
	s_cmp_ge_u32 s22, s24
	s_mov_b32 s23, 0
	s_cselect_b32 s22, s25, s5
.LBB0_6:
	v_and_b32_e32 v24, 15, v0
	s_load_b64 s[6:7], s[6:7], 0x18
	s_mul_u64 s[12:13], s[16:17], s[12:13]
	s_mul_u64 s[16:17], s[20:21], s[18:19]
	s_wait_alu 0xfffe
	s_sub_nc_u64 s[10:11], s[10:11], s[12:13]
	v_mad_co_u64_u32 v[17:18], null, s14, v24, 0
	s_wait_alu 0xfffe
	s_lshl_b64 s[10:11], s[10:11], 4
	v_lshrrev_b32_e32 v34, 4, v0
	s_wait_alu 0xfffe
	v_mov_b32_e32 v20, s11
	s_mul_u64 s[12:13], s[14:15], s[10:11]
	v_mov_b32_e32 v4, 0
	s_wait_alu 0xfffe
	s_add_nc_u64 s[12:13], s[16:17], s[12:13]
	v_mov_b32_e32 v1, v18
	v_or_b32_e32 v19, s10, v24
	s_add_nc_u64 s[10:11], s[10:11], 16
	s_wait_alu 0xfffe
	v_cmp_le_u64_e64 s5, s[10:11], s[8:9]
	v_mad_co_u64_u32 v[1:2], null, s15, v24, v[1:2]
	v_mov_b32_e32 v1, 0
	v_cmp_gt_u64_e32 vcc_lo, s[8:9], v[19:20]
	v_mov_b32_e32 v2, 0
	s_wait_kmcnt 0x0
	s_mul_u64 s[6:7], s[6:7], s[22:23]
	s_delay_alu instid0(SALU_CYCLE_1) | instskip(SKIP_1) | instid1(SALU_CYCLE_1)
	s_add_nc_u64 s[6:7], s[6:7], s[12:13]
	s_or_b32 s5, s5, vcc_lo
	s_and_saveexec_b32 s7, s5
	s_cbranch_execz .LBB0_8
; %bb.7:
	v_mul_lo_u32 v1, s4, v34
	v_mov_b32_e32 v2, 0
	s_delay_alu instid0(VALU_DEP_2) | instskip(NEXT) | instid1(VALU_DEP_1)
	v_add3_u32 v1, s6, v17, v1
	v_lshlrev_b64_e32 v[1:2], 3, v[1:2]
	s_delay_alu instid0(VALU_DEP_1) | instskip(NEXT) | instid1(VALU_DEP_2)
	v_add_co_u32 v1, vcc_lo, s2, v1
	v_add_co_ci_u32_e32 v2, vcc_lo, s3, v2, vcc_lo
	global_load_b64 v[1:2], v[1:2], off
.LBB0_8:
	s_or_b32 exec_lo, exec_lo, s7
	v_mov_b32_e32 v3, 0
	s_and_saveexec_b32 s7, s5
	s_cbranch_execz .LBB0_10
; %bb.9:
	v_dual_mov_b32 v4, 0 :: v_dual_add_nc_u32 v3, 0x64, v34
	s_delay_alu instid0(VALU_DEP_1) | instskip(NEXT) | instid1(VALU_DEP_1)
	v_mul_lo_u32 v3, s4, v3
	v_add3_u32 v3, s6, v17, v3
	s_delay_alu instid0(VALU_DEP_1) | instskip(NEXT) | instid1(VALU_DEP_1)
	v_lshlrev_b64_e32 v[3:4], 3, v[3:4]
	v_add_co_u32 v3, vcc_lo, s2, v3
	s_wait_alu 0xfffd
	s_delay_alu instid0(VALU_DEP_2)
	v_add_co_ci_u32_e32 v4, vcc_lo, s3, v4, vcc_lo
	global_load_b64 v[3:4], v[3:4], off
.LBB0_10:
	s_wait_alu 0xfffe
	s_or_b32 exec_lo, exec_lo, s7
	v_dual_mov_b32 v5, 0 :: v_dual_add_nc_u32 v18, 20, v34
	v_mov_b32_e32 v8, 0
	v_mov_b32_e32 v6, 0
	s_and_saveexec_b32 s7, s5
	s_cbranch_execz .LBB0_12
; %bb.11:
	v_mul_lo_u32 v5, s4, v18
	v_mov_b32_e32 v6, 0
	s_delay_alu instid0(VALU_DEP_2) | instskip(NEXT) | instid1(VALU_DEP_1)
	v_add3_u32 v5, s6, v17, v5
	v_lshlrev_b64_e32 v[5:6], 3, v[5:6]
	s_delay_alu instid0(VALU_DEP_1) | instskip(SKIP_1) | instid1(VALU_DEP_2)
	v_add_co_u32 v5, vcc_lo, s2, v5
	s_wait_alu 0xfffd
	v_add_co_ci_u32_e32 v6, vcc_lo, s3, v6, vcc_lo
	global_load_b64 v[5:6], v[5:6], off
.LBB0_12:
	s_wait_alu 0xfffe
	s_or_b32 exec_lo, exec_lo, s7
	v_mov_b32_e32 v7, 0
	s_and_saveexec_b32 s7, s5
	s_cbranch_execz .LBB0_14
; %bb.13:
	v_dual_mov_b32 v8, 0 :: v_dual_add_nc_u32 v7, 0x78, v34
	s_delay_alu instid0(VALU_DEP_1) | instskip(NEXT) | instid1(VALU_DEP_1)
	v_mul_lo_u32 v7, s4, v7
	v_add3_u32 v7, s6, v17, v7
	s_delay_alu instid0(VALU_DEP_1) | instskip(NEXT) | instid1(VALU_DEP_1)
	v_lshlrev_b64_e32 v[7:8], 3, v[7:8]
	v_add_co_u32 v7, vcc_lo, s2, v7
	s_wait_alu 0xfffd
	s_delay_alu instid0(VALU_DEP_2)
	v_add_co_ci_u32_e32 v8, vcc_lo, s3, v8, vcc_lo
	global_load_b64 v[7:8], v[7:8], off
.LBB0_14:
	s_wait_alu 0xfffe
	s_or_b32 exec_lo, exec_lo, s7
	v_dual_mov_b32 v9, 0 :: v_dual_add_nc_u32 v38, 40, v34
	v_mov_b32_e32 v12, 0
	v_mov_b32_e32 v10, 0
	s_and_saveexec_b32 s7, s5
	s_cbranch_execz .LBB0_16
; %bb.15:
	v_mul_lo_u32 v9, s4, v38
	v_mov_b32_e32 v10, 0
	s_delay_alu instid0(VALU_DEP_2) | instskip(NEXT) | instid1(VALU_DEP_1)
	v_add3_u32 v9, s6, v17, v9
	v_lshlrev_b64_e32 v[9:10], 3, v[9:10]
	s_delay_alu instid0(VALU_DEP_1) | instskip(SKIP_1) | instid1(VALU_DEP_2)
	v_add_co_u32 v9, vcc_lo, s2, v9
	s_wait_alu 0xfffd
	v_add_co_ci_u32_e32 v10, vcc_lo, s3, v10, vcc_lo
	global_load_b64 v[9:10], v[9:10], off
.LBB0_16:
	s_wait_alu 0xfffe
	s_or_b32 exec_lo, exec_lo, s7
	v_mov_b32_e32 v11, 0
	s_and_saveexec_b32 s7, s5
	s_cbranch_execz .LBB0_18
; %bb.17:
	v_dual_mov_b32 v12, 0 :: v_dual_add_nc_u32 v11, 0x8c, v34
	s_delay_alu instid0(VALU_DEP_1) | instskip(NEXT) | instid1(VALU_DEP_1)
	v_mul_lo_u32 v11, s4, v11
	v_add3_u32 v11, s6, v17, v11
	s_delay_alu instid0(VALU_DEP_1) | instskip(NEXT) | instid1(VALU_DEP_1)
	v_lshlrev_b64_e32 v[11:12], 3, v[11:12]
	v_add_co_u32 v11, vcc_lo, s2, v11
	s_wait_alu 0xfffd
	s_delay_alu instid0(VALU_DEP_2)
	v_add_co_ci_u32_e32 v12, vcc_lo, s3, v12, vcc_lo
	global_load_b64 v[11:12], v[11:12], off
.LBB0_18:
	s_wait_alu 0xfffe
	s_or_b32 exec_lo, exec_lo, s7
	v_dual_mov_b32 v16, 0 :: v_dual_mov_b32 v13, 0
	v_mov_b32_e32 v14, 0
	s_and_saveexec_b32 s7, s5
	s_cbranch_execz .LBB0_20
; %bb.19:
	v_dual_mov_b32 v14, 0 :: v_dual_add_nc_u32 v13, 60, v34
	s_delay_alu instid0(VALU_DEP_1) | instskip(NEXT) | instid1(VALU_DEP_1)
	v_mul_lo_u32 v13, s4, v13
	v_add3_u32 v13, s6, v17, v13
	s_delay_alu instid0(VALU_DEP_1) | instskip(NEXT) | instid1(VALU_DEP_1)
	v_lshlrev_b64_e32 v[13:14], 3, v[13:14]
	v_add_co_u32 v13, vcc_lo, s2, v13
	s_wait_alu 0xfffd
	s_delay_alu instid0(VALU_DEP_2)
	v_add_co_ci_u32_e32 v14, vcc_lo, s3, v14, vcc_lo
	global_load_b64 v[13:14], v[13:14], off
.LBB0_20:
	s_wait_alu 0xfffe
	s_or_b32 exec_lo, exec_lo, s7
	v_mov_b32_e32 v15, 0
	s_and_saveexec_b32 s7, s5
	s_cbranch_execz .LBB0_22
; %bb.21:
	v_dual_mov_b32 v16, 0 :: v_dual_add_nc_u32 v15, 0xa0, v34
	s_delay_alu instid0(VALU_DEP_1) | instskip(NEXT) | instid1(VALU_DEP_1)
	v_mul_lo_u32 v15, s4, v15
	v_add3_u32 v15, s6, v17, v15
	s_delay_alu instid0(VALU_DEP_1) | instskip(NEXT) | instid1(VALU_DEP_1)
	v_lshlrev_b64_e32 v[15:16], 3, v[15:16]
	v_add_co_u32 v15, vcc_lo, s2, v15
	s_wait_alu 0xfffd
	s_delay_alu instid0(VALU_DEP_2)
	v_add_co_ci_u32_e32 v16, vcc_lo, s3, v16, vcc_lo
	global_load_b64 v[15:16], v[15:16], off
.LBB0_22:
	s_wait_alu 0xfffe
	s_or_b32 exec_lo, exec_lo, s7
	v_dual_mov_b32 v20, 0 :: v_dual_add_nc_u32 v39, 0x50, v34
	v_mov_b32_e32 v23, 0
	v_mov_b32_e32 v21, 0
	s_and_saveexec_b32 s7, s5
	s_cbranch_execz .LBB0_24
; %bb.23:
	v_mul_lo_u32 v20, s4, v39
	v_mov_b32_e32 v21, 0
	s_delay_alu instid0(VALU_DEP_2) | instskip(NEXT) | instid1(VALU_DEP_1)
	v_add3_u32 v20, s6, v17, v20
	v_lshlrev_b64_e32 v[20:21], 3, v[20:21]
	s_delay_alu instid0(VALU_DEP_1) | instskip(SKIP_1) | instid1(VALU_DEP_2)
	v_add_co_u32 v20, vcc_lo, s2, v20
	s_wait_alu 0xfffd
	v_add_co_ci_u32_e32 v21, vcc_lo, s3, v21, vcc_lo
	global_load_b64 v[20:21], v[20:21], off
.LBB0_24:
	s_wait_alu 0xfffe
	s_or_b32 exec_lo, exec_lo, s7
	s_load_b64 s[8:9], s[0:1], 0x0
	v_mov_b32_e32 v22, 0
	s_and_saveexec_b32 s7, s5
	s_cbranch_execz .LBB0_26
; %bb.25:
	v_dual_mov_b32 v23, 0 :: v_dual_add_nc_u32 v22, 0xb4, v34
	s_delay_alu instid0(VALU_DEP_1) | instskip(NEXT) | instid1(VALU_DEP_1)
	v_mul_lo_u32 v22, s4, v22
	v_add3_u32 v22, s6, v17, v22
	s_delay_alu instid0(VALU_DEP_1) | instskip(NEXT) | instid1(VALU_DEP_1)
	v_lshlrev_b64_e32 v[22:23], 3, v[22:23]
	v_add_co_u32 v22, vcc_lo, s2, v22
	s_wait_alu 0xfffd
	s_delay_alu instid0(VALU_DEP_2)
	v_add_co_ci_u32_e32 v23, vcc_lo, s3, v23, vcc_lo
	global_load_b64 v[22:23], v[22:23], off
.LBB0_26:
	s_wait_alu 0xfffe
	s_or_b32 exec_lo, exec_lo, s7
	s_wait_loadcnt 0x0
	v_dual_sub_f32 v3, v1, v3 :: v_dual_sub_f32 v4, v2, v4
	v_dual_sub_f32 v22, v20, v22 :: v_dual_lshlrev_b32 v37, 3, v24
	v_dual_sub_f32 v7, v5, v7 :: v_dual_sub_f32 v8, v6, v8
	s_delay_alu instid0(VALU_DEP_3) | instskip(SKIP_4) | instid1(VALU_DEP_4)
	v_fma_f32 v25, v1, 2.0, -v3
	v_lshlrev_b32_e32 v1, 8, v34
	v_fma_f32 v26, v2, 2.0, -v4
	v_dual_sub_f32 v15, v13, v15 :: v_dual_sub_f32 v16, v14, v16
	v_sub_f32_e32 v23, v21, v23
	v_add3_u32 v2, 0, v1, v37
	v_lshlrev_b32_e32 v27, 8, v18
	v_dual_sub_f32 v11, v9, v11 :: v_dual_sub_f32 v12, v10, v12
	v_lshl_add_u32 v1, v38, 8, 0
	ds_store_2addr_b64 v2, v[25:26], v[3:4] offset1:16
	v_lshlrev_b32_e32 v26, 7, v34
	v_lshlrev_b32_e32 v3, 8, v39
	v_fma_f32 v5, v5, 2.0, -v7
	v_fma_f32 v6, v6, 2.0, -v8
	;; [unrolled: 1-line block ×4, first 2 shown]
	v_add3_u32 v4, 0, v27, v37
	v_add_nc_u32_e32 v27, 0x3800, v2
	v_sub_nc_u32_e32 v35, v2, v26
	v_fma_f32 v9, v9, 2.0, -v11
	v_fma_f32 v10, v10, 2.0, -v12
	;; [unrolled: 1-line block ×4, first 2 shown]
	v_add_nc_u32_e32 v25, v1, v37
	v_add3_u32 v3, 0, v3, v37
	v_lshlrev_b32_e32 v2, 7, v18
	ds_store_2addr_b64 v4, v[5:6], v[7:8] offset1:16
	ds_store_2addr_b64 v25, v[9:10], v[11:12] offset1:16
	ds_store_2addr_b64 v27, v[13:14], v[15:16] offset0:128 offset1:144
	ds_store_2addr_b64 v3, v[20:21], v[22:23] offset1:16
	v_add_nc_u32_e32 v3, 0x100, v35
	v_sub_nc_u32_e32 v36, v4, v2
	global_wb scope:SCOPE_SE
	s_wait_dscnt 0x0
	s_wait_kmcnt 0x0
	s_barrier_signal -1
	s_barrier_wait -1
	global_inv scope:SCOPE_SE
	ds_load_2addr_stride64_b64 v[13:16], v3 offset0:12 offset1:17
	ds_load_2addr_stride64_b64 v[9:12], v35 offset0:25 offset1:30
	;; [unrolled: 1-line block ×3, first 2 shown]
	ds_load_b64 v[32:33], v35
	ds_load_b64 v[30:31], v36
	v_cmp_gt_u32_e32 vcc_lo, 0xa0, v0
	v_lshlrev_b32_e32 v40, 7, v38
                                        ; implicit-def: $vgpr27
                                        ; implicit-def: $vgpr25
	s_and_saveexec_b32 s7, vcc_lo
	s_cbranch_execz .LBB0_28
; %bb.27:
	s_delay_alu instid0(VALU_DEP_1) | instskip(NEXT) | instid1(VALU_DEP_1)
	v_sub_nc_u32_e32 v1, v1, v40
	v_lshl_add_u32 v1, v24, 3, v1
	ds_load_b64 v[22:23], v35 offset:11520
	ds_load_b64 v[24:25], v35 offset:17920
	ds_load_b64 v[20:21], v1
	ds_load_b64 v[26:27], v35 offset:24320
.LBB0_28:
	s_wait_alu 0xfffe
	s_or_b32 exec_lo, exec_lo, s7
	v_bfe_u32 v41, v0, 4, 1
	s_delay_alu instid0(VALU_DEP_1) | instskip(NEXT) | instid1(VALU_DEP_1)
	v_mul_u32_u24_e32 v1, 3, v41
	v_lshlrev_b32_e32 v28, 3, v1
	s_clause 0x1
	global_load_b128 v[1:4], v28, s[8:9]
	global_load_b64 v[28:29], v28, s[8:9] offset:16
	v_lshlrev_b32_e32 v42, 2, v34
	v_lshlrev_b32_e32 v43, 2, v18
	global_wb scope:SCOPE_SE
	s_wait_loadcnt_dscnt 0x0
	s_barrier_signal -1
	s_barrier_wait -1
	global_inv scope:SCOPE_SE
	v_mul_f32_e32 v50, v2, v16
	v_mul_f32_e32 v45, v2, v13
	v_and_or_b32 v42, 0xf8, v42, v41
	v_and_or_b32 v43, 0x1f8, v43, v41
	v_dual_mul_f32 v46, v4, v10 :: v_dual_mul_f32 v49, v29, v5
	s_delay_alu instid0(VALU_DEP_3) | instskip(NEXT) | instid1(VALU_DEP_3)
	v_dual_mul_f32 v47, v4, v9 :: v_dual_lshlrev_b32 v42, 7, v42
	v_dual_mul_f32 v44, v2, v14 :: v_dual_lshlrev_b32 v43, 7, v43
	v_dual_mul_f32 v48, v29, v6 :: v_dual_mul_f32 v53, v4, v11
	s_delay_alu instid0(VALU_DEP_3) | instskip(SKIP_1) | instid1(VALU_DEP_4)
	v_dual_mul_f32 v54, v29, v8 :: v_dual_fmac_f32 v47, v3, v10
	v_dual_mul_f32 v52, v4, v12 :: v_dual_mul_f32 v55, v29, v7
	v_fma_f32 v13, v1, v13, -v44
	s_delay_alu instid0(VALU_DEP_4)
	v_fma_f32 v5, v28, v5, -v48
	v_fmac_f32_e32 v49, v28, v6
	v_dual_fmac_f32 v53, v3, v12 :: v_dual_sub_f32 v12, v33, v47
	v_mul_f32_e32 v51, v2, v15
	v_fma_f32 v9, v3, v9, -v46
	v_fma_f32 v10, v1, v15, -v50
	;; [unrolled: 1-line block ×3, first 2 shown]
	v_fma_f32 v33, v33, 2.0, -v12
	v_dual_fmac_f32 v55, v28, v8 :: v_dual_sub_f32 v8, v13, v5
	v_fmac_f32_e32 v45, v1, v14
	v_fma_f32 v6, v3, v11, -v52
	v_sub_f32_e32 v11, v32, v9
	v_sub_f32_e32 v9, v10, v7
	v_dual_fmac_f32 v51, v1, v16 :: v_dual_sub_f32 v16, v31, v53
	v_sub_f32_e32 v5, v45, v49
	v_dual_sub_f32 v15, v30, v6 :: v_dual_add_f32 v6, v12, v8
	v_fma_f32 v13, v13, 2.0, -v8
	s_delay_alu instid0(VALU_DEP_4) | instskip(NEXT) | instid1(VALU_DEP_4)
	v_add_f32_e32 v8, v16, v9
	v_fma_f32 v14, v45, 2.0, -v5
	s_delay_alu instid0(VALU_DEP_4)
	v_fma_f32 v44, v30, 2.0, -v15
	v_fma_f32 v30, v10, 2.0, -v9
	;; [unrolled: 1-line block ×3, first 2 shown]
	v_add3_u32 v42, 0, v42, v37
	v_dual_sub_f32 v10, v33, v14 :: v_dual_sub_f32 v7, v51, v55
	v_fma_f32 v12, v12, 2.0, -v6
	v_add3_u32 v43, 0, v43, v37
	v_fma_f32 v16, v16, 2.0, -v8
	s_delay_alu instid0(VALU_DEP_4) | instskip(SKIP_1) | instid1(VALU_DEP_2)
	v_fma_f32 v31, v51, 2.0, -v7
	v_sub_f32_e32 v7, v15, v7
	v_sub_f32_e32 v14, v45, v31
	v_fma_f32 v32, v32, 2.0, -v11
	v_sub_f32_e32 v5, v11, v5
	v_fma_f32 v31, v33, 2.0, -v10
	v_fma_f32 v15, v15, 2.0, -v7
	v_fma_f32 v33, v45, 2.0, -v14
	v_sub_f32_e32 v9, v32, v13
	v_sub_f32_e32 v13, v44, v30
	v_fma_f32 v11, v11, 2.0, -v5
	s_delay_alu instid0(VALU_DEP_3) | instskip(NEXT) | instid1(VALU_DEP_3)
	v_fma_f32 v30, v32, 2.0, -v9
	v_fma_f32 v32, v44, 2.0, -v13
	ds_store_2addr_b64 v42, v[9:10], v[5:6] offset0:64 offset1:96
	ds_store_2addr_b64 v42, v[30:31], v[11:12] offset1:32
	ds_store_2addr_b64 v43, v[32:33], v[15:16] offset1:32
	ds_store_2addr_b64 v43, v[13:14], v[7:8] offset0:64 offset1:96
	s_and_saveexec_b32 s7, vcc_lo
	s_cbranch_execz .LBB0_30
; %bb.29:
	v_dual_mul_f32 v5, v24, v4 :: v_dual_mul_f32 v6, v23, v2
	v_dual_mul_f32 v4, v25, v4 :: v_dual_mul_f32 v7, v26, v29
	s_delay_alu instid0(VALU_DEP_2) | instskip(NEXT) | instid1(VALU_DEP_3)
	v_dual_mul_f32 v2, v22, v2 :: v_dual_fmac_f32 v5, v25, v3
	v_fma_f32 v6, v22, v1, -v6
	v_mul_f32_e32 v8, v27, v29
	s_delay_alu instid0(VALU_DEP_3) | instskip(SKIP_4) | instid1(VALU_DEP_2)
	v_fmac_f32_e32 v2, v23, v1
	v_fma_f32 v1, v24, v3, -v4
	v_sub_f32_e32 v5, v21, v5
	v_fmac_f32_e32 v7, v27, v28
	v_fma_f32 v3, v26, v28, -v8
	v_dual_sub_f32 v4, v2, v7 :: v_dual_sub_f32 v7, v20, v1
	s_delay_alu instid0(VALU_DEP_2) | instskip(SKIP_2) | instid1(VALU_DEP_4)
	v_sub_f32_e32 v1, v6, v3
	v_lshlrev_b32_e32 v3, 2, v38
	v_fma_f32 v8, v21, 2.0, -v5
	v_fma_f32 v9, v2, 2.0, -v4
	;; [unrolled: 1-line block ×3, first 2 shown]
	v_add_f32_e32 v2, v5, v1
	v_fma_f32 v6, v6, 2.0, -v1
	v_and_or_b32 v11, 0xf8, v3, v41
	v_dual_sub_f32 v1, v7, v4 :: v_dual_sub_f32 v4, v8, v9
	s_delay_alu instid0(VALU_DEP_3) | instskip(NEXT) | instid1(VALU_DEP_3)
	v_sub_f32_e32 v3, v10, v6
	v_lshlrev_b32_e32 v9, 7, v11
	v_fma_f32 v6, v5, 2.0, -v2
	s_delay_alu instid0(VALU_DEP_4)
	v_fma_f32 v5, v7, 2.0, -v1
	v_fma_f32 v8, v8, 2.0, -v4
	;; [unrolled: 1-line block ×3, first 2 shown]
	v_add3_u32 v9, 0, v9, v37
	ds_store_2addr_b64 v9, v[7:8], v[5:6] offset1:32
	ds_store_2addr_b64 v9, v[3:4], v[1:2] offset0:64 offset1:96
.LBB0_30:
	s_wait_alu 0xfffe
	s_or_b32 exec_lo, exec_lo, s7
	v_bfe_u32 v42, v0, 4, 3
	global_wb scope:SCOPE_SE
	s_wait_dscnt 0x0
	s_barrier_signal -1
	s_barrier_wait -1
	global_inv scope:SCOPE_SE
	v_lshlrev_b32_e32 v1, 5, v42
	v_add3_u32 v3, 0, v40, v37
	v_lshrrev_b32_e32 v28, 7, v0
	v_lshrrev_b32_e32 v29, 3, v18
	global_load_b128 v[5:8], v1, s[8:9] offset:48
	v_and_b32_e32 v43, 7, v18
	v_mul_u32_u24_e32 v44, 40, v28
	v_mul_u32_u24_e32 v45, 40, v29
	s_delay_alu instid0(VALU_DEP_3) | instskip(NEXT) | instid1(VALU_DEP_3)
	v_lshlrev_b32_e32 v2, 5, v43
	v_or_b32_e32 v46, v44, v42
	s_delay_alu instid0(VALU_DEP_3)
	v_or_b32_e32 v47, v45, v43
	s_clause 0x2
	global_load_b128 v[9:12], v1, s[8:9] offset:64
	global_load_b128 v[13:16], v2, s[8:9] offset:48
	global_load_b128 v[20:23], v2, s[8:9] offset:64
	v_lshlrev_b32_e32 v1, 7, v39
	s_delay_alu instid0(VALU_DEP_1)
	v_add3_u32 v4, 0, v1, v37
	ds_load_b64 v[1:2], v3
	ds_load_2addr_stride64_b64 v[24:27], v35 offset0:25 offset1:30
	ds_load_b64 v[32:33], v4
	ds_load_2addr_stride64_b64 v[28:31], v35 offset0:35 offset1:40
	ds_load_2addr_stride64_b64 v[38:41], v35 offset1:15
	ds_load_b64 v[42:43], v36
	ds_load_b64 v[44:45], v35 offset:23040
	v_lshlrev_b32_e32 v46, 7, v46
	v_lshlrev_b32_e32 v47, 7, v47
	global_wb scope:SCOPE_SE
	s_wait_loadcnt_dscnt 0x0
	s_barrier_signal -1
	s_barrier_wait -1
	global_inv scope:SCOPE_SE
	v_mul_f32_e32 v48, v8, v33
	v_dual_mul_f32 v8, v8, v32 :: v_dual_mul_f32 v49, v10, v27
	v_mul_f32_e32 v10, v10, v26
	v_add3_u32 v46, 0, v46, v37
	v_add3_u32 v37, 0, v47, v37
	v_dual_mul_f32 v47, v6, v2 :: v_dual_mul_f32 v50, v12, v31
	v_dual_mul_f32 v6, v6, v1 :: v_dual_mul_f32 v51, v12, v30
	v_mul_f32_e32 v12, v14, v41
	v_dual_mul_f32 v14, v14, v40 :: v_dual_mul_f32 v53, v29, v21
	v_dual_mul_f32 v52, v25, v16 :: v_dual_mul_f32 v21, v28, v21
	v_fma_f32 v1, v5, v1, -v47
	v_mul_f32_e32 v54, v45, v23
	v_mul_f32_e32 v23, v44, v23
	v_fma_f32 v26, v9, v26, -v49
	v_fmac_f32_e32 v10, v9, v27
	v_fma_f32 v27, v11, v30, -v50
	v_fmac_f32_e32 v6, v5, v2
	v_fma_f32 v2, v7, v32, -v48
	v_dual_mul_f32 v16, v24, v16 :: v_dual_fmac_f32 v51, v11, v31
	v_dual_fmac_f32 v8, v7, v33 :: v_dual_fmac_f32 v21, v29, v20
	v_fma_f32 v5, v13, v40, -v12
	v_fma_f32 v7, v24, v15, -v52
	v_add_f32_e32 v9, v38, v1
	v_fma_f32 v24, v44, v22, -v54
	v_dual_add_f32 v11, v2, v26 :: v_dual_fmac_f32 v14, v13, v41
	v_fma_f32 v13, v28, v20, -v53
	v_dual_add_f32 v20, v1, v27 :: v_dual_add_f32 v31, v8, v10
	v_sub_f32_e32 v29, v26, v27
	v_dual_fmac_f32 v23, v45, v22 :: v_dual_sub_f32 v22, v6, v51
	v_dual_fmac_f32 v16, v25, v15 :: v_dual_sub_f32 v15, v27, v26
	v_dual_sub_f32 v12, v1, v2 :: v_dual_sub_f32 v47, v10, v51
	v_dual_add_f32 v30, v39, v6 :: v_dual_sub_f32 v53, v5, v7
	v_dual_sub_f32 v25, v8, v10 :: v_dual_add_f32 v44, v6, v51
	v_add_f32_e32 v49, v7, v13
	v_dual_add_f32 v48, v42, v5 :: v_dual_add_f32 v55, v5, v24
	v_dual_sub_f32 v50, v14, v23 :: v_dual_sub_f32 v57, v13, v24
	v_sub_f32_e32 v56, v7, v5
	v_dual_add_f32 v58, v43, v14 :: v_dual_add_f32 v59, v16, v21
	v_dual_sub_f32 v60, v5, v24 :: v_dual_sub_f32 v61, v7, v13
	v_fma_f32 v5, -0.5, v20, v38
	v_dual_sub_f32 v28, v2, v1 :: v_dual_sub_f32 v41, v51, v10
	v_dual_sub_f32 v40, v6, v8 :: v_dual_sub_f32 v45, v8, v6
	v_add_f32_e32 v64, v14, v23
	v_dual_sub_f32 v32, v1, v27 :: v_dual_sub_f32 v33, v2, v26
	v_dual_sub_f32 v54, v24, v13 :: v_dual_add_f32 v9, v9, v2
	v_fma_f32 v1, -0.5, v11, v38
	v_add_f32_e32 v66, v12, v15
	v_add_f32_e32 v12, v30, v8
	v_fma_f32 v2, -0.5, v31, v39
	v_dual_sub_f32 v52, v16, v21 :: v_dual_sub_f32 v65, v21, v23
	v_dual_sub_f32 v62, v14, v16 :: v_dual_sub_f32 v63, v23, v21
	v_sub_f32_e32 v14, v16, v14
	v_fma_f32 v6, -0.5, v44, v39
	v_add_f32_e32 v15, v48, v7
	v_dual_add_f32 v38, v56, v57 :: v_dual_fmamk_f32 v11, v25, 0xbf737871, v5
	v_dual_add_f32 v16, v58, v16 :: v_dual_fmac_f32 v5, 0x3f737871, v25
	v_fma_f32 v7, -0.5, v49, v42
	v_fma_f32 v42, -0.5, v55, v42
	;; [unrolled: 1-line block ×3, first 2 shown]
	v_add_f32_e32 v28, v28, v29
	v_add_f32_e32 v29, v40, v41
	v_dual_fmac_f32 v43, -0.5, v64 :: v_dual_add_f32 v30, v45, v47
	v_dual_add_f32 v20, v9, v26 :: v_dual_add_f32 v41, v15, v13
	v_fmamk_f32 v9, v22, 0x3f737871, v1
	v_fmac_f32_e32 v1, 0xbf737871, v22
	v_dual_add_f32 v26, v12, v10 :: v_dual_fmamk_f32 v13, v50, 0x3f737871, v7
	v_fmamk_f32 v10, v32, 0xbf737871, v2
	v_dual_add_f32 v44, v16, v21 :: v_dual_fmac_f32 v11, 0x3f167918, v22
	v_fmamk_f32 v12, v33, 0x3f737871, v6
	v_fmac_f32_e32 v6, 0xbf737871, v33
	v_dual_fmac_f32 v2, 0x3f737871, v32 :: v_dual_add_f32 v21, v26, v51
	v_add_f32_e32 v39, v62, v63
	v_dual_add_f32 v40, v14, v65 :: v_dual_fmac_f32 v7, 0xbf737871, v50
	v_fmamk_f32 v15, v52, 0xbf737871, v42
	v_fmamk_f32 v14, v60, 0xbf737871, v8
	v_fmac_f32_e32 v42, 0x3f737871, v52
	v_fmac_f32_e32 v8, 0x3f737871, v60
	v_fmamk_f32 v16, v61, 0x3f737871, v43
	v_dual_fmac_f32 v43, 0xbf737871, v61 :: v_dual_add_f32 v20, v20, v27
	v_fmac_f32_e32 v9, 0x3f167918, v25
	v_dual_fmac_f32 v5, 0xbf167918, v22 :: v_dual_fmac_f32 v10, 0xbf167918, v33
	v_add_f32_e32 v22, v41, v24
	v_dual_fmac_f32 v6, 0x3f167918, v32 :: v_dual_fmac_f32 v15, 0x3f167918, v50
	v_add_f32_e32 v23, v44, v23
	v_dual_fmac_f32 v1, 0xbf167918, v25 :: v_dual_fmac_f32 v12, 0xbf167918, v32
	v_dual_fmac_f32 v2, 0x3f167918, v33 :: v_dual_fmac_f32 v13, 0x3f167918, v52
	v_dual_add_f32 v31, v53, v54 :: v_dual_fmac_f32 v14, 0xbf167918, v61
	v_dual_fmac_f32 v7, 0xbf167918, v52 :: v_dual_fmac_f32 v42, 0xbf167918, v50
	v_dual_fmac_f32 v8, 0x3f167918, v61 :: v_dual_fmac_f32 v43, 0x3f167918, v60
	v_fmac_f32_e32 v16, 0xbf167918, v60
	v_dual_fmac_f32 v9, 0x3e9e377a, v66 :: v_dual_fmac_f32 v10, 0x3e9e377a, v29
	v_dual_fmac_f32 v11, 0x3e9e377a, v28 :: v_dual_fmac_f32 v12, 0x3e9e377a, v30
	;; [unrolled: 1-line block ×8, first 2 shown]
	ds_store_2addr_stride64_b64 v46, v[20:21], v[9:10] offset1:2
	ds_store_2addr_stride64_b64 v46, v[11:12], v[5:6] offset0:4 offset1:6
	ds_store_b64 v46, v[1:2] offset:4096
	ds_store_2addr_stride64_b64 v37, v[22:23], v[13:14] offset1:2
	ds_store_2addr_stride64_b64 v37, v[15:16], v[42:43] offset0:4 offset1:6
	ds_store_b64 v37, v[7:8] offset:4096
	global_wb scope:SCOPE_SE
	s_wait_dscnt 0x0
	s_barrier_signal -1
	s_barrier_wait -1
	global_inv scope:SCOPE_SE
	s_and_saveexec_b32 s7, s5
	s_cbranch_execz .LBB0_32
; %bb.31:
	v_subrev_nc_u32_e32 v1, 40, v34
	v_cmp_gt_u32_e32 vcc_lo, 0x280, v0
	v_dual_mov_b32 v2, 0 :: v_dual_and_b32 v5, 0xff, v18
	s_load_b64 s[0:1], s[0:1], 0x8
	s_delay_alu instid0(VALU_DEP_3) | instskip(NEXT) | instid1(VALU_DEP_2)
	v_cndmask_b32_e32 v34, v1, v34, vcc_lo
	v_mul_lo_u16 v7, 0xcd, v5
	s_delay_alu instid0(VALU_DEP_2) | instskip(NEXT) | instid1(VALU_DEP_1)
	v_mul_lo_u32 v83, v19, v34
	v_and_b32_e32 v21, 0xff, v83
	v_lshlrev_b32_e32 v1, 2, v34
	v_lshrrev_b32_e32 v22, 5, v83
	s_delay_alu instid0(VALU_DEP_2) | instskip(SKIP_1) | instid1(VALU_DEP_1)
	v_lshlrev_b64_e32 v[5:6], 3, v[1:2]
	v_lshrrev_b16 v1, 13, v7
	v_mul_lo_u16 v9, v1, 40
	s_delay_alu instid0(VALU_DEP_3) | instskip(SKIP_1) | instid1(VALU_DEP_4)
	v_add_co_u32 v13, vcc_lo, s8, v5
	s_wait_alu 0xfffd
	v_add_co_ci_u32_e32 v14, vcc_lo, s9, v6, vcc_lo
	s_delay_alu instid0(VALU_DEP_3) | instskip(SKIP_4) | instid1(VALU_DEP_1)
	v_sub_nc_u16 v9, v18, v9
	v_cmp_lt_u32_e32 vcc_lo, 0x27f, v0
	global_load_b128 v[5:8], v[13:14], off offset:304
	v_lshlrev_b32_e32 v21, 3, v21
	v_and_b32_e32 v24, 0xff, v9
	v_lshlrev_b32_e32 v20, 5, v24
	s_clause 0x1
	global_load_b128 v[9:12], v20, s[8:9] offset:320
	global_load_b128 v[13:16], v[13:14], off offset:320
	v_and_b32_e32 v22, 0x7f8, v22
	s_wait_kmcnt 0x0
	s_clause 0x1
	global_load_b64 v[28:29], v21, s[0:1]
	global_load_b64 v[30:31], v22, s[0:1] offset:2048
	v_add_nc_u32_e32 v21, 0xa0, v34
	v_add_nc_u32_e32 v22, 0x50, v34
	s_delay_alu instid0(VALU_DEP_2) | instskip(SKIP_1) | instid1(VALU_DEP_3)
	v_mul_lo_u32 v25, v19, v21
	v_add_nc_u32_e32 v21, 0x78, v34
	v_mul_lo_u32 v27, v19, v22
	s_delay_alu instid0(VALU_DEP_2) | instskip(NEXT) | instid1(VALU_DEP_4)
	v_mul_lo_u32 v26, v19, v21
	v_and_b32_e32 v21, 0xff, v25
	v_lshrrev_b32_e32 v23, 5, v25
	v_lshrrev_b32_e32 v25, 13, v25
	s_delay_alu instid0(VALU_DEP_3) | instskip(NEXT) | instid1(VALU_DEP_3)
	v_lshlrev_b32_e32 v21, 3, v21
	v_and_b32_e32 v22, 0x7f8, v23
	v_add_nc_u32_e32 v23, 40, v34
	v_and_b32_e32 v39, 0xff, v26
	s_clause 0x1
	global_load_b64 v[32:33], v21, s[0:1]
	global_load_b64 v[37:38], v22, s[0:1] offset:2048
	v_lshrrev_b32_e32 v21, 5, v26
	v_mul_lo_u32 v51, v19, v23
	v_lshlrev_b32_e32 v39, 3, v39
	v_and_b32_e32 v22, 0xff, v27
	v_lshrrev_b32_e32 v23, 5, v27
	v_and_b32_e32 v21, 0x7f8, v21
	s_clause 0x1
	global_load_b64 v[39:40], v39, s[0:1]
	global_load_b64 v[41:42], v21, s[0:1] offset:2048
	v_and_b32_e32 v21, 0xff, v51
	v_lshrrev_b32_e32 v26, 13, v26
	v_lshlrev_b32_e32 v22, 3, v22
	v_lshrrev_b32_e32 v47, 5, v51
	v_and_b32_e32 v23, 0x7f8, v23
	v_lshlrev_b32_e32 v21, 3, v21
	v_and_b32_e32 v25, 0x7f8, v25
	v_lshrrev_b32_e32 v27, 13, v27
	v_and_b32_e32 v26, 0x7f8, v26
	s_clause 0x1
	global_load_b64 v[43:44], v22, s[0:1]
	global_load_b64 v[45:46], v23, s[0:1] offset:2048
	v_and_b32_e32 v22, 0x7f8, v47
	v_lshrrev_b32_e32 v55, 13, v51
	s_clause 0x1
	global_load_b64 v[47:48], v21, s[0:1]
	global_load_b64 v[49:50], v22, s[0:1] offset:2048
	global_load_b128 v[20:23], v20, s[8:9] offset:304
	s_clause 0x1
	global_load_b64 v[51:52], v25, s[0:1] offset:4096
	global_load_b64 v[53:54], v26, s[0:1] offset:4096
	v_and_b32_e32 v25, 0x7f8, v27
	v_and_b32_e32 v26, 0x7f8, v55
	s_clause 0x1
	global_load_b64 v[55:56], v25, s[0:1] offset:4096
	global_load_b64 v[57:58], v26, s[0:1] offset:4096
	ds_load_b64 v[59:60], v35 offset:23040
	ds_load_b64 v[61:62], v3
	ds_load_b64 v[3:4], v4
	s_wait_loadcnt_dscnt 0x1100
	v_mul_f32_e32 v88, v8, v3
	v_mul_f32_e32 v8, v8, v4
	;; [unrolled: 1-line block ×3, first 2 shown]
	s_delay_alu instid0(VALU_DEP_3) | instskip(NEXT) | instid1(VALU_DEP_3)
	v_fmac_f32_e32 v88, v7, v4
	v_fma_f32 v89, v7, v3, -v8
	v_mul_f32_e32 v3, v6, v62
	v_add_nc_u32_e32 v25, 0xa0, v24
	v_mul_lo_u32 v84, v19, v24
	v_add_nc_u32_e32 v26, 0x78, v24
	v_add_nc_u32_e32 v27, 0x50, v24
	;; [unrolled: 1-line block ×3, first 2 shown]
	v_mul_lo_u32 v85, v19, v25
	v_fmac_f32_e32 v90, v5, v62
	v_mul_lo_u32 v86, v19, v26
	v_mul_lo_u32 v87, v19, v27
	;; [unrolled: 1-line block ×3, first 2 shown]
	v_and_b32_e32 v24, 0xff, v84
	v_lshrrev_b32_e32 v25, 5, v84
	v_fma_f32 v91, v5, v61, -v3
	v_and_b32_e32 v26, 0xff, v85
	v_lshrrev_b32_e32 v27, 5, v85
	v_lshlrev_b32_e32 v24, 3, v24
	v_and_b32_e32 v25, 0x7f8, v25
	v_and_b32_e32 v67, 0xff, v86
	v_lshrrev_b32_e32 v68, 5, v86
	v_and_b32_e32 v69, 0xff, v87
	v_lshrrev_b32_e32 v70, 5, v87
	v_and_b32_e32 v71, 0xff, v19
	s_clause 0x1
	global_load_b64 v[63:64], v24, s[0:1]
	global_load_b64 v[65:66], v25, s[0:1] offset:2048
	v_lshrrev_b32_e32 v24, 5, v19
	v_lshlrev_b32_e32 v25, 3, v26
	v_and_b32_e32 v26, 0x7f8, v27
	v_lshlrev_b32_e32 v27, 3, v67
	v_and_b32_e32 v73, 0x7f8, v68
	;; [unrolled: 2-line block ×4, first 2 shown]
	s_clause 0x3
	global_load_b64 v[67:68], v25, s[0:1]
	global_load_b64 v[69:70], v26, s[0:1] offset:2048
	global_load_b64 v[71:72], v27, s[0:1]
	global_load_b64 v[73:74], v73, s[0:1] offset:2048
	ds_load_2addr_stride64_b64 v[24:27], v35 offset0:35 offset1:40
	s_clause 0x3
	global_load_b64 v[75:76], v75, s[0:1]
	global_load_b64 v[77:78], v77, s[0:1] offset:2048
	global_load_b64 v[79:80], v79, s[0:1]
	global_load_b64 v[81:82], v81, s[0:1] offset:2048
	ds_load_b64 v[61:62], v36
	v_lshrrev_b32_e32 v3, 13, v84
	s_wait_loadcnt 0x1a
	v_mul_f32_e32 v36, v59, v12
	v_mul_f32_e32 v5, v60, v12
	s_delay_alu instid0(VALU_DEP_3) | instskip(NEXT) | instid1(VALU_DEP_3)
	v_and_b32_e32 v7, 0x7f8, v3
	v_fmac_f32_e32 v36, v60, v11
	s_delay_alu instid0(VALU_DEP_3)
	v_fma_f32 v59, v59, v11, -v5
	s_wait_dscnt 0x1
	v_mul_f32_e32 v4, v25, v10
	v_mul_f32_e32 v84, v24, v10
	s_wait_loadcnt 0x19
	v_mul_f32_e32 v8, v16, v27
	s_delay_alu instid0(VALU_DEP_3)
	v_fma_f32 v60, v24, v9, -v4
	ds_load_2addr_stride64_b64 v[3:6], v35 offset0:25 offset1:30
	v_fmac_f32_e32 v84, v25, v9
	global_load_b64 v[9:10], v7, s[0:1] offset:4096
	v_lshrrev_b32_e32 v7, 13, v85
	v_mul_f32_e32 v85, v16, v26
	v_lshrrev_b32_e32 v16, 13, v86
	v_fma_f32 v86, v15, v26, -v8
	v_lshrrev_b32_e32 v8, 13, v19
	v_and_b32_e32 v7, 0x7f8, v7
	v_fmac_f32_e32 v85, v15, v27
	v_and_b32_e32 v15, 0x7f8, v16
	v_add_nc_u32_e32 v0, s6, v17
	v_and_b32_e32 v8, 0x7f8, v8
	global_load_b64 v[11:12], v7, s[0:1] offset:4096
	s_wait_dscnt 0x0
	v_mul_f32_e32 v19, v14, v5
	v_mul_f32_e32 v16, v14, v6
	global_load_b64 v[14:15], v15, s[0:1] offset:4096
	v_lshrrev_b32_e32 v7, 13, v87
	v_fmac_f32_e32 v19, v13, v6
	v_fma_f32 v13, v13, v5, -v16
	v_lshrrev_b32_e32 v5, 13, v83
	s_delay_alu instid0(VALU_DEP_4)
	v_and_b32_e32 v7, 0x7f8, v7
	s_clause 0x1
	global_load_b64 v[24:25], v7, s[0:1] offset:4096
	global_load_b64 v[26:27], v8, s[0:1] offset:4096
	s_wait_loadcnt 0x1c
	v_mul_f32_e32 v6, v29, v31
	v_mul_f32_e32 v31, v28, v31
	v_and_b32_e32 v5, 0x7f8, v5
	s_wait_alu 0xfffd
	v_cndmask_b32_e64 v16, 0, 0xc8, vcc_lo
	v_fma_f32 v83, v28, v30, -v6
	v_fmac_f32_e32 v31, v30, v29
	global_load_b64 v[28:29], v5, s[0:1] offset:4096
	s_wait_loadcnt 0x1b
	v_mul_f32_e32 v5, v33, v38
	v_mul_f32_e32 v30, v32, v38
	s_wait_loadcnt 0x17
	v_mul_f32_e32 v38, v43, v46
	v_add_nc_u32_e32 v34, v34, v16
	v_fma_f32 v32, v32, v37, -v5
	ds_load_2addr_stride64_b64 v[5:8], v35 offset1:15
	v_dual_fmac_f32 v30, v33, v37 :: v_dual_mul_f32 v33, v40, v42
	v_mul_f32_e32 v35, v39, v42
	v_mul_f32_e32 v37, v44, v46
	v_fmac_f32_e32 v38, v44, v45
	v_sub_f32_e32 v44, v90, v88
	v_fma_f32 v33, v39, v41, -v33
	v_fmac_f32_e32 v35, v40, v41
	v_fma_f32 v37, v43, v45, -v37
	s_wait_loadcnt 0x15
	v_dual_sub_f32 v45, v85, v19 :: v_dual_mul_f32 v40, v48, v50
	v_mul_f32_e32 v41, v47, v50
	s_wait_loadcnt 0x14
	v_mul_f32_e32 v43, v3, v23
	v_mul_f32_e32 v23, v4, v23
	v_sub_f32_e32 v50, v89, v91
	v_fma_f32 v40, v47, v49, -v40
	v_fmac_f32_e32 v41, v48, v49
	v_sub_f32_e32 v49, v19, v85
	v_fma_f32 v3, v3, v22, -v23
	s_wait_dscnt 0x0
	v_mul_f32_e32 v42, v21, v7
	v_dual_mul_f32 v21, v21, v8 :: v_dual_add_f32 v44, v44, v45
	v_sub_f32_e32 v45, v13, v86
	s_delay_alu instid0(VALU_DEP_3) | instskip(SKIP_2) | instid1(VALU_DEP_3)
	v_dual_fmac_f32 v42, v20, v8 :: v_dual_add_nc_u32 v39, 40, v34
	v_dual_add_f32 v8, v89, v13 :: v_dual_fmac_f32 v43, v4, v22
	s_wait_loadcnt 0x13
	v_dual_add_f32 v45, v50, v45 :: v_dual_mul_f32 v50, v32, v52
	v_add_f32_e32 v22, v88, v19
	s_delay_alu instid0(VALU_DEP_3)
	v_fma_f32 v48, -0.5, v8, v5
	v_sub_f32_e32 v8, v88, v90
	v_sub_f32_e32 v46, v91, v89
	;; [unrolled: 1-line block ×3, first 2 shown]
	v_fma_f32 v22, -0.5, v22, v6
	v_fmac_f32_e32 v50, v51, v30
	v_dual_add_f32 v8, v8, v49 :: v_dual_mul_f32 v49, v30, v52
	s_wait_loadcnt 0x12
	v_mul_f32_e32 v52, v35, v54
	v_fma_f32 v7, v20, v7, -v21
	v_mul_f32_e32 v54, v33, v54
	v_dual_add_f32 v21, v91, v86 :: v_dual_add_f32 v20, v90, v85
	v_fma_f32 v32, v51, v32, -v49
	s_wait_loadcnt 0x11
	v_mul_f32_e32 v30, v37, v56
	v_fmac_f32_e32 v54, v53, v35
	v_fma_f32 v21, -0.5, v21, v5
	v_add_f32_e32 v5, v5, v91
	v_add_f32_e32 v47, v6, v90
	v_fma_f32 v20, -0.5, v20, v6
	v_dual_sub_f32 v6, v86, v13 :: v_dual_sub_f32 v23, v91, v86
	s_delay_alu instid0(VALU_DEP_4) | instskip(SKIP_2) | instid1(VALU_DEP_3)
	v_add_f32_e32 v5, v5, v89
	s_wait_loadcnt 0x10
	v_dual_mul_f32 v49, v38, v56 :: v_dual_mul_f32 v56, v40, v58
	v_add_f32_e32 v6, v46, v6
	v_dual_sub_f32 v46, v88, v19 :: v_dual_mul_f32 v51, v41, v58
	v_fma_f32 v33, v53, v33, -v52
	v_sub_f32_e32 v52, v42, v43
	v_add_f32_e32 v58, v43, v84
	v_dual_add_f32 v47, v47, v88 :: v_dual_fmac_f32 v56, v57, v41
	v_fmac_f32_e32 v30, v55, v38
	v_sub_f32_e32 v38, v7, v3
	v_add_f32_e32 v88, v3, v60
	v_dual_add_f32 v41, v42, v36 :: v_dual_add_f32 v90, v5, v13
	v_fma_f32 v37, v55, v37, -v49
	v_sub_f32_e32 v55, v59, v60
	v_dual_sub_f32 v35, v36, v84 :: v_dual_sub_f32 v4, v89, v13
	v_add_f32_e32 v89, v62, v42
	v_fma_f32 v58, -0.5, v58, v62
	v_fma_f32 v41, -0.5, v41, v62
	v_sub_f32_e32 v62, v43, v84
	v_fma_f32 v40, v57, v40, -v51
	v_dual_sub_f32 v51, v42, v36 :: v_dual_sub_f32 v42, v43, v42
	v_add_f32_e32 v38, v38, v55
	v_dual_add_f32 v13, v52, v35 :: v_dual_fmamk_f32 v52, v87, 0xbf737871, v48
	v_add_f32_e32 v57, v7, v59
	v_fmac_f32_e32 v48, 0x3f737871, v87
	v_add_f32_e32 v47, v47, v19
	v_sub_f32_e32 v19, v84, v36
	v_sub_f32_e32 v53, v3, v60
	;; [unrolled: 1-line block ×3, first 2 shown]
	v_fma_f32 v88, -0.5, v88, v61
	v_sub_f32_e32 v5, v60, v59
	v_fmamk_f32 v35, v23, 0x3f737871, v22
	v_dual_add_f32 v19, v42, v19 :: v_dual_fmamk_f32 v42, v4, 0xbf737871, v20
	v_fmac_f32_e32 v20, 0x3f737871, v4
	v_fmac_f32_e32 v22, 0xbf737871, v23
	;; [unrolled: 1-line block ×3, first 2 shown]
	v_fma_f32 v57, -0.5, v57, v61
	v_add_f32_e32 v61, v61, v7
	v_sub_f32_e32 v7, v3, v7
	v_fmac_f32_e32 v42, 0x3f167918, v23
	v_add_f32_e32 v43, v89, v43
	v_fmac_f32_e32 v20, 0xbf167918, v23
	v_dual_fmac_f32 v22, 0xbf167918, v4 :: v_dual_add_f32 v3, v61, v3
	v_fmac_f32_e32 v48, 0x3f167918, v46
	v_fmac_f32_e32 v42, 0x3e9e377a, v8
	v_add_f32_e32 v43, v43, v84
	v_mad_co_u64_u32 v[16:17], null, s4, v34, v[0:1]
	s_delay_alu instid0(VALU_DEP_4)
	v_dual_fmac_f32 v48, 0x3e9e377a, v6 :: v_dual_mov_b32 v17, v2
	v_fmac_f32_e32 v20, 0x3e9e377a, v8
	v_fmac_f32_e32 v22, 0x3e9e377a, v44
	v_fmac_f32_e32 v52, 0x3e9e377a, v6
	s_wait_loadcnt 0xe
	v_dual_add_f32 v36, v43, v36 :: v_dual_mul_f32 v55, v64, v66
	v_mul_f32_e32 v61, v63, v66
	s_delay_alu instid0(VALU_DEP_2) | instskip(NEXT) | instid1(VALU_DEP_2)
	v_fma_f32 v55, v63, v65, -v55
	v_fmac_f32_e32 v61, v64, v65
	s_wait_loadcnt 0xc
	v_mul_f32_e32 v23, v67, v70
	s_wait_loadcnt 0xa
	v_dual_mul_f32 v66, v71, v74 :: v_dual_fmac_f32 v35, 0x3f167918, v4
	v_dual_mul_f32 v4, v68, v70 :: v_dual_add_f32 v5, v7, v5
	v_fmamk_f32 v7, v46, 0x3f737871, v21
	v_fmac_f32_e32 v21, 0xbf737871, v46
	v_mul_f32_e32 v46, v72, v74
	s_wait_loadcnt 0x8
	v_mul_f32_e32 v64, v75, v78
	s_wait_loadcnt 0x6
	v_mul_f32_e32 v70, v79, v82
	v_dual_fmamk_f32 v74, v49, 0x3f737871, v58 :: v_dual_mul_f32 v63, v76, v78
	v_dual_fmamk_f32 v78, v53, 0xbf737871, v41 :: v_dual_mul_f32 v65, v80, v82
	v_dual_fmac_f32 v58, 0xbf737871, v49 :: v_dual_add_f32 v3, v3, v60
	v_fmamk_f32 v60, v51, 0xbf737871, v88
	v_dual_fmac_f32 v21, 0x3f167918, v87 :: v_dual_fmac_f32 v70, v80, v81
	v_fmac_f32_e32 v88, 0x3f737871, v51
	v_dual_fmac_f32 v7, 0xbf167918, v87 :: v_dual_fmac_f32 v64, v76, v77
	s_delay_alu instid0(VALU_DEP_3) | instskip(NEXT) | instid1(VALU_DEP_3)
	v_fmac_f32_e32 v21, 0x3e9e377a, v45
	v_dual_fmac_f32 v23, v68, v69 :: v_dual_fmac_f32 v88, 0x3f167918, v62
	s_delay_alu instid0(VALU_DEP_3)
	v_fmac_f32_e32 v7, 0x3e9e377a, v45
	v_fmamk_f32 v45, v62, 0x3f737871, v57
	v_fmac_f32_e32 v57, 0xbf737871, v62
	v_fma_f32 v46, v71, v73, -v46
	v_dual_fmac_f32 v66, v72, v73 :: v_dual_fmac_f32 v35, 0x3e9e377a, v44
	v_mul_f32_e32 v8, v21, v30
	v_fma_f32 v44, v67, v69, -v4
	s_wait_loadcnt 0x5
	v_dual_mul_f32 v68, v55, v10 :: v_dual_fmac_f32 v41, 0x3f737871, v53
	v_mul_f32_e32 v6, v7, v54
	v_fmac_f32_e32 v74, 0x3f167918, v53
	v_fma_f32 v63, v75, v77, -v63
	v_fmac_f32_e32 v78, 0x3f167918, v49
	v_fma_f32 v65, v79, v81, -v65
	v_dual_mul_f32 v67, v61, v10 :: v_dual_fmac_f32 v58, 0xbf167918, v53
	v_dual_fmac_f32 v60, 0xbf167918, v62 :: v_dual_fmac_f32 v41, 0xbf167918, v49
	v_dual_add_f32 v43, v3, v59 :: v_dual_fmac_f32 v68, v9, v61
	v_dual_mul_f32 v4, v52, v50 :: v_dual_fmac_f32 v45, 0xbf167918, v51
	v_mul_f32_e32 v30, v20, v30
	v_mul_f32_e32 v3, v35, v50
	v_dual_mul_f32 v49, v42, v54 :: v_dual_fmac_f32 v74, 0x3e9e377a, v13
	v_dual_mul_f32 v10, v48, v56 :: v_dual_fmac_f32 v57, 0x3f167918, v51
	v_mul_f32_e32 v50, v22, v56
	s_wait_loadcnt 0x4
	v_mul_f32_e32 v51, v23, v12
	v_dual_mul_f32 v53, v44, v12 :: v_dual_fmac_f32 v60, 0x3e9e377a, v38
	s_wait_loadcnt 0x3
	v_mul_f32_e32 v12, v66, v15
	v_dual_mul_f32 v15, v46, v15 :: v_dual_fmac_f32 v58, 0x3e9e377a, v13
	;; [unrolled: 3-line block ×4, first 2 shown]
	v_dual_fmac_f32 v45, 0x3e9e377a, v5 :: v_dual_fmac_f32 v4, v35, v32
	v_dual_fmac_f32 v41, 0x3e9e377a, v19 :: v_dual_fmac_f32 v6, v42, v33
	;; [unrolled: 1-line block ×4, first 2 shown]
	v_fmac_f32_e32 v15, v14, v66
	v_fmac_f32_e32 v25, v24, v64
	;; [unrolled: 1-line block ×3, first 2 shown]
	v_fma_f32 v5, v7, v33, -v49
	v_fma_f32 v7, v21, v37, -v30
	;; [unrolled: 1-line block ×4, first 2 shown]
	v_mul_f32_e32 v14, v60, v53
	v_fma_f32 v21, v24, v63, -v54
	v_fma_f32 v23, v26, v65, -v56
	v_mul_f32_e32 v12, v43, v68
	v_dual_mul_f32 v11, v36, v68 :: v_dual_mul_f32 v20, v45, v15
	v_mul_f32_e32 v26, v74, v53
	v_dual_mul_f32 v15, v78, v15 :: v_dual_mul_f32 v22, v57, v25
	v_dual_mul_f32 v25, v41, v25 :: v_dual_mul_f32 v24, v88, v27
	v_mul_f32_e32 v27, v58, v27
	v_fmac_f32_e32 v14, v74, v13
	s_delay_alu instid0(VALU_DEP_4)
	v_fmac_f32_e32 v22, v41, v21
	v_fma_f32 v55, v9, v55, -v67
	v_fmac_f32_e32 v24, v58, v23
	v_fma_f32 v23, v88, v23, -v27
	s_wait_loadcnt 0x0
	v_mul_f32_e32 v27, v29, v83
	v_dual_mul_f32 v29, v29, v31 :: v_dual_add_f32 v30, v90, v86
	v_fma_f32 v13, v60, v13, -v26
	v_fma_f32 v21, v57, v21, -v25
	v_mad_co_u64_u32 v[25:26], null, s4, v39, v[0:1]
	v_dual_fmac_f32 v27, v28, v31 :: v_dual_mov_b32 v26, v2
	v_dual_fmac_f32 v12, v36, v55 :: v_dual_add_f32 v31, v47, v85
	v_fma_f32 v29, v28, v83, -v29
	v_fmac_f32_e32 v20, v78, v19
	v_fma_f32 v19, v45, v19, -v15
	v_lshlrev_b64_e32 v[15:16], 3, v[16:17]
	v_mul_f32_e32 v17, v30, v27
	v_fma_f32 v3, v52, v32, -v3
	v_mul_f32_e32 v32, v31, v27
	v_lshlrev_b64_e32 v[25:26], 3, v[25:26]
	v_fma_f32 v9, v48, v40, -v50
	v_add_co_u32 v27, vcc_lo, s2, v15
	v_add_nc_u32_e32 v15, 0x50, v34
	v_fmac_f32_e32 v17, v31, v29
	v_add_nc_u32_e32 v31, 0x78, v34
	s_wait_alu 0xfffd
	v_add_co_ci_u32_e32 v28, vcc_lo, s3, v16, vcc_lo
	v_fma_f32 v16, v30, v29, -v32
	v_mad_co_u64_u32 v[29:30], null, s4, v15, v[0:1]
	v_add_co_u32 v25, vcc_lo, s2, v25
	s_wait_alu 0xfffd
	v_add_co_ci_u32_e32 v26, vcc_lo, s3, v26, vcc_lo
	v_dual_mov_b32 v30, v2 :: v_dual_add_nc_u32 v15, 0xa0, v34
	v_mad_co_u64_u32 v[31:32], null, s4, v31, v[0:1]
	v_mov_b32_e32 v32, v2
	s_clause 0x1
	global_store_b64 v[27:28], v[16:17], off
	global_store_b64 v[25:26], v[9:10], off
	v_lshlrev_b64_e32 v[9:10], 3, v[29:30]
	v_mad_co_u64_u32 v[15:16], null, s4, v15, v[0:1]
	v_and_b32_e32 v1, 0xffff, v1
	v_lshlrev_b64_e32 v[25:26], 3, v[31:32]
	v_fma_f32 v11, v43, v55, -v11
	v_add_co_u32 v9, vcc_lo, s2, v9
	s_wait_alu 0xfffd
	v_add_co_ci_u32_e32 v10, vcc_lo, s3, v10, vcc_lo
	s_delay_alu instid0(VALU_DEP_4)
	v_add_co_u32 v17, vcc_lo, s2, v25
	v_mad_u32_u24 v1, 0xa0, v1, v18
	v_mov_b32_e32 v16, v2
	s_wait_alu 0xfffd
	v_add_co_ci_u32_e32 v18, vcc_lo, s3, v26, vcc_lo
	s_clause 0x1
	global_store_b64 v[9:10], v[7:8], off
	global_store_b64 v[17:18], v[5:6], off
	v_add_nc_u32_e32 v5, 40, v1
	v_lshlrev_b64_e32 v[15:16], 3, v[15:16]
	v_mad_co_u64_u32 v[25:26], null, s4, v1, v[0:1]
	v_dual_mov_b32 v26, v2 :: v_dual_add_nc_u32 v7, 0x50, v1
	s_delay_alu instid0(VALU_DEP_4) | instskip(NEXT) | instid1(VALU_DEP_4)
	v_mad_co_u64_u32 v[5:6], null, s4, v5, v[0:1]
	v_add_co_u32 v15, vcc_lo, s2, v15
	s_wait_alu 0xfffd
	v_add_co_ci_u32_e32 v16, vcc_lo, s3, v16, vcc_lo
	v_mad_co_u64_u32 v[7:8], null, s4, v7, v[0:1]
	v_dual_mov_b32 v6, v2 :: v_dual_add_nc_u32 v9, 0x78, v1
	v_dual_mov_b32 v8, v2 :: v_dual_add_nc_u32 v1, 0xa0, v1
	global_store_b64 v[15:16], v[3:4], off
	v_lshlrev_b64_e32 v[3:4], 3, v[25:26]
	v_lshlrev_b64_e32 v[5:6], 3, v[5:6]
	;; [unrolled: 1-line block ×3, first 2 shown]
	v_mad_co_u64_u32 v[9:10], null, s4, v9, v[0:1]
	v_mov_b32_e32 v10, v2
	v_mad_co_u64_u32 v[0:1], null, s4, v1, v[0:1]
	v_mov_b32_e32 v1, v2
	v_add_co_u32 v3, vcc_lo, s2, v3
	s_wait_alu 0xfffd
	v_add_co_ci_u32_e32 v4, vcc_lo, s3, v4, vcc_lo
	v_add_co_u32 v5, vcc_lo, s2, v5
	v_lshlrev_b64_e32 v[9:10], 3, v[9:10]
	s_wait_alu 0xfffd
	v_add_co_ci_u32_e32 v6, vcc_lo, s3, v6, vcc_lo
	v_add_co_u32 v7, vcc_lo, s2, v7
	v_lshlrev_b64_e32 v[0:1], 3, v[0:1]
	s_wait_alu 0xfffd
	v_add_co_ci_u32_e32 v8, vcc_lo, s3, v8, vcc_lo
	v_add_co_u32 v9, vcc_lo, s2, v9
	s_wait_alu 0xfffd
	v_add_co_ci_u32_e32 v10, vcc_lo, s3, v10, vcc_lo
	v_add_co_u32 v0, vcc_lo, s2, v0
	s_wait_alu 0xfffd
	v_add_co_ci_u32_e32 v1, vcc_lo, s3, v1, vcc_lo
	s_clause 0x4
	global_store_b64 v[3:4], v[11:12], off
	global_store_b64 v[5:6], v[23:24], off
	;; [unrolled: 1-line block ×5, first 2 shown]
.LBB0_32:
	s_nop 0
	s_sendmsg sendmsg(MSG_DEALLOC_VGPRS)
	s_endpgm
	.section	.rodata,"a",@progbits
	.p2align	6, 0x0
	.amdhsa_kernel fft_rtc_fwd_len200_factors_2_4_5_5_wgs_320_tpt_20_dim3_sp_ip_CI_sbcc_twdbase8_3step_dirReg_intrinsicReadWrite
		.amdhsa_group_segment_fixed_size 0
		.amdhsa_private_segment_fixed_size 0
		.amdhsa_kernarg_size 88
		.amdhsa_user_sgpr_count 2
		.amdhsa_user_sgpr_dispatch_ptr 0
		.amdhsa_user_sgpr_queue_ptr 0
		.amdhsa_user_sgpr_kernarg_segment_ptr 1
		.amdhsa_user_sgpr_dispatch_id 0
		.amdhsa_user_sgpr_private_segment_size 0
		.amdhsa_wavefront_size32 1
		.amdhsa_uses_dynamic_stack 0
		.amdhsa_enable_private_segment 0
		.amdhsa_system_sgpr_workgroup_id_x 1
		.amdhsa_system_sgpr_workgroup_id_y 0
		.amdhsa_system_sgpr_workgroup_id_z 0
		.amdhsa_system_sgpr_workgroup_info 0
		.amdhsa_system_vgpr_workitem_id 0
		.amdhsa_next_free_vgpr 92
		.amdhsa_next_free_sgpr 26
		.amdhsa_reserve_vcc 1
		.amdhsa_float_round_mode_32 0
		.amdhsa_float_round_mode_16_64 0
		.amdhsa_float_denorm_mode_32 3
		.amdhsa_float_denorm_mode_16_64 3
		.amdhsa_fp16_overflow 0
		.amdhsa_workgroup_processor_mode 1
		.amdhsa_memory_ordered 1
		.amdhsa_forward_progress 0
		.amdhsa_round_robin_scheduling 0
		.amdhsa_exception_fp_ieee_invalid_op 0
		.amdhsa_exception_fp_denorm_src 0
		.amdhsa_exception_fp_ieee_div_zero 0
		.amdhsa_exception_fp_ieee_overflow 0
		.amdhsa_exception_fp_ieee_underflow 0
		.amdhsa_exception_fp_ieee_inexact 0
		.amdhsa_exception_int_div_zero 0
	.end_amdhsa_kernel
	.text
.Lfunc_end0:
	.size	fft_rtc_fwd_len200_factors_2_4_5_5_wgs_320_tpt_20_dim3_sp_ip_CI_sbcc_twdbase8_3step_dirReg_intrinsicReadWrite, .Lfunc_end0-fft_rtc_fwd_len200_factors_2_4_5_5_wgs_320_tpt_20_dim3_sp_ip_CI_sbcc_twdbase8_3step_dirReg_intrinsicReadWrite
                                        ; -- End function
	.section	.AMDGPU.csdata,"",@progbits
; Kernel info:
; codeLenInByte = 7184
; NumSgprs: 28
; NumVgprs: 92
; ScratchSize: 0
; MemoryBound: 0
; FloatMode: 240
; IeeeMode: 1
; LDSByteSize: 0 bytes/workgroup (compile time only)
; SGPRBlocks: 3
; VGPRBlocks: 11
; NumSGPRsForWavesPerEU: 28
; NumVGPRsForWavesPerEU: 92
; Occupancy: 15
; WaveLimiterHint : 1
; COMPUTE_PGM_RSRC2:SCRATCH_EN: 0
; COMPUTE_PGM_RSRC2:USER_SGPR: 2
; COMPUTE_PGM_RSRC2:TRAP_HANDLER: 0
; COMPUTE_PGM_RSRC2:TGID_X_EN: 1
; COMPUTE_PGM_RSRC2:TGID_Y_EN: 0
; COMPUTE_PGM_RSRC2:TGID_Z_EN: 0
; COMPUTE_PGM_RSRC2:TIDIG_COMP_CNT: 0
	.text
	.p2alignl 7, 3214868480
	.fill 96, 4, 3214868480
	.type	__hip_cuid_62e43966b7f5e6e7,@object ; @__hip_cuid_62e43966b7f5e6e7
	.section	.bss,"aw",@nobits
	.globl	__hip_cuid_62e43966b7f5e6e7
__hip_cuid_62e43966b7f5e6e7:
	.byte	0                               ; 0x0
	.size	__hip_cuid_62e43966b7f5e6e7, 1

	.ident	"AMD clang version 19.0.0git (https://github.com/RadeonOpenCompute/llvm-project roc-6.4.0 25133 c7fe45cf4b819c5991fe208aaa96edf142730f1d)"
	.section	".note.GNU-stack","",@progbits
	.addrsig
	.addrsig_sym __hip_cuid_62e43966b7f5e6e7
	.amdgpu_metadata
---
amdhsa.kernels:
  - .args:
      - .actual_access:  read_only
        .address_space:  global
        .offset:         0
        .size:           8
        .value_kind:     global_buffer
      - .address_space:  global
        .offset:         8
        .size:           8
        .value_kind:     global_buffer
      - .actual_access:  read_only
        .address_space:  global
        .offset:         16
        .size:           8
        .value_kind:     global_buffer
      - .actual_access:  read_only
        .address_space:  global
        .offset:         24
        .size:           8
        .value_kind:     global_buffer
      - .offset:         32
        .size:           8
        .value_kind:     by_value
      - .actual_access:  read_only
        .address_space:  global
        .offset:         40
        .size:           8
        .value_kind:     global_buffer
      - .actual_access:  read_only
        .address_space:  global
        .offset:         48
        .size:           8
        .value_kind:     global_buffer
      - .offset:         56
        .size:           4
        .value_kind:     by_value
      - .actual_access:  read_only
        .address_space:  global
        .offset:         64
        .size:           8
        .value_kind:     global_buffer
      - .actual_access:  read_only
        .address_space:  global
        .offset:         72
        .size:           8
        .value_kind:     global_buffer
      - .address_space:  global
        .offset:         80
        .size:           8
        .value_kind:     global_buffer
    .group_segment_fixed_size: 0
    .kernarg_segment_align: 8
    .kernarg_segment_size: 88
    .language:       OpenCL C
    .language_version:
      - 2
      - 0
    .max_flat_workgroup_size: 320
    .name:           fft_rtc_fwd_len200_factors_2_4_5_5_wgs_320_tpt_20_dim3_sp_ip_CI_sbcc_twdbase8_3step_dirReg_intrinsicReadWrite
    .private_segment_fixed_size: 0
    .sgpr_count:     28
    .sgpr_spill_count: 0
    .symbol:         fft_rtc_fwd_len200_factors_2_4_5_5_wgs_320_tpt_20_dim3_sp_ip_CI_sbcc_twdbase8_3step_dirReg_intrinsicReadWrite.kd
    .uniform_work_group_size: 1
    .uses_dynamic_stack: false
    .vgpr_count:     92
    .vgpr_spill_count: 0
    .wavefront_size: 32
    .workgroup_processor_mode: 1
amdhsa.target:   amdgcn-amd-amdhsa--gfx1201
amdhsa.version:
  - 1
  - 2
...

	.end_amdgpu_metadata
